;; amdgpu-corpus repo=ROCm/rocFFT kind=compiled arch=gfx1030 opt=O3
	.text
	.amdgcn_target "amdgcn-amd-amdhsa--gfx1030"
	.amdhsa_code_object_version 6
	.protected	fft_rtc_fwd_len1600_factors_10_16_10_wgs_200_tpt_100_halfLds_dp_ip_CI_sbrr_dirReg ; -- Begin function fft_rtc_fwd_len1600_factors_10_16_10_wgs_200_tpt_100_halfLds_dp_ip_CI_sbrr_dirReg
	.globl	fft_rtc_fwd_len1600_factors_10_16_10_wgs_200_tpt_100_halfLds_dp_ip_CI_sbrr_dirReg
	.p2align	8
	.type	fft_rtc_fwd_len1600_factors_10_16_10_wgs_200_tpt_100_halfLds_dp_ip_CI_sbrr_dirReg,@function
fft_rtc_fwd_len1600_factors_10_16_10_wgs_200_tpt_100_halfLds_dp_ip_CI_sbrr_dirReg: ; @fft_rtc_fwd_len1600_factors_10_16_10_wgs_200_tpt_100_halfLds_dp_ip_CI_sbrr_dirReg
; %bb.0:
	s_clause 0x2
	s_load_dwordx2 s[14:15], s[4:5], 0x18
	s_load_dwordx4 s[8:11], s[4:5], 0x0
	s_load_dwordx2 s[12:13], s[4:5], 0x50
	v_mul_u32_u24_e32 v1, 0x290, v0
	v_mov_b32_e32 v3, 0
	v_lshrrev_b32_e32 v136, 16, v1
	v_mov_b32_e32 v1, 0
	v_mov_b32_e32 v6, v3
	v_mov_b32_e32 v2, 0
	v_lshl_add_u32 v5, s6, 1, v136
	s_waitcnt lgkmcnt(0)
	s_load_dwordx2 s[2:3], s[14:15], 0x0
	v_cmp_lt_u64_e64 s0, s[10:11], 2
	s_and_b32 vcc_lo, exec_lo, s0
	s_cbranch_vccnz .LBB0_8
; %bb.1:
	s_load_dwordx2 s[0:1], s[4:5], 0x10
	v_mov_b32_e32 v1, 0
	s_add_u32 s6, s14, 8
	v_mov_b32_e32 v2, 0
	s_addc_u32 s7, s15, 0
	s_mov_b64 s[18:19], 1
	s_waitcnt lgkmcnt(0)
	s_add_u32 s16, s0, 8
	s_addc_u32 s17, s1, 0
.LBB0_2:                                ; =>This Inner Loop Header: Depth=1
	s_load_dwordx2 s[20:21], s[16:17], 0x0
                                        ; implicit-def: $vgpr7_vgpr8
	s_mov_b32 s0, exec_lo
	s_waitcnt lgkmcnt(0)
	v_or_b32_e32 v4, s21, v6
	v_cmpx_ne_u64_e32 0, v[3:4]
	s_xor_b32 s1, exec_lo, s0
	s_cbranch_execz .LBB0_4
; %bb.3:                                ;   in Loop: Header=BB0_2 Depth=1
	v_cvt_f32_u32_e32 v4, s20
	v_cvt_f32_u32_e32 v7, s21
	s_sub_u32 s0, 0, s20
	s_subb_u32 s22, 0, s21
	v_fmac_f32_e32 v4, 0x4f800000, v7
	v_rcp_f32_e32 v4, v4
	v_mul_f32_e32 v4, 0x5f7ffffc, v4
	v_mul_f32_e32 v7, 0x2f800000, v4
	v_trunc_f32_e32 v7, v7
	v_fmac_f32_e32 v4, 0xcf800000, v7
	v_cvt_u32_f32_e32 v7, v7
	v_cvt_u32_f32_e32 v4, v4
	v_mul_lo_u32 v8, s0, v7
	v_mul_hi_u32 v9, s0, v4
	v_mul_lo_u32 v10, s22, v4
	v_add_nc_u32_e32 v8, v9, v8
	v_mul_lo_u32 v9, s0, v4
	v_add_nc_u32_e32 v8, v8, v10
	v_mul_hi_u32 v10, v4, v9
	v_mul_lo_u32 v11, v4, v8
	v_mul_hi_u32 v12, v4, v8
	v_mul_hi_u32 v13, v7, v9
	v_mul_lo_u32 v9, v7, v9
	v_mul_hi_u32 v14, v7, v8
	v_mul_lo_u32 v8, v7, v8
	v_add_co_u32 v10, vcc_lo, v10, v11
	v_add_co_ci_u32_e32 v11, vcc_lo, 0, v12, vcc_lo
	v_add_co_u32 v9, vcc_lo, v10, v9
	v_add_co_ci_u32_e32 v9, vcc_lo, v11, v13, vcc_lo
	v_add_co_ci_u32_e32 v10, vcc_lo, 0, v14, vcc_lo
	v_add_co_u32 v8, vcc_lo, v9, v8
	v_add_co_ci_u32_e32 v9, vcc_lo, 0, v10, vcc_lo
	v_add_co_u32 v4, vcc_lo, v4, v8
	v_add_co_ci_u32_e32 v7, vcc_lo, v7, v9, vcc_lo
	v_mul_hi_u32 v8, s0, v4
	v_mul_lo_u32 v10, s22, v4
	v_mul_lo_u32 v9, s0, v7
	v_add_nc_u32_e32 v8, v8, v9
	v_mul_lo_u32 v9, s0, v4
	v_add_nc_u32_e32 v8, v8, v10
	v_mul_hi_u32 v10, v4, v9
	v_mul_lo_u32 v11, v4, v8
	v_mul_hi_u32 v12, v4, v8
	v_mul_hi_u32 v13, v7, v9
	v_mul_lo_u32 v9, v7, v9
	v_mul_hi_u32 v14, v7, v8
	v_mul_lo_u32 v8, v7, v8
	v_add_co_u32 v10, vcc_lo, v10, v11
	v_add_co_ci_u32_e32 v11, vcc_lo, 0, v12, vcc_lo
	v_add_co_u32 v9, vcc_lo, v10, v9
	v_add_co_ci_u32_e32 v9, vcc_lo, v11, v13, vcc_lo
	v_add_co_ci_u32_e32 v10, vcc_lo, 0, v14, vcc_lo
	v_add_co_u32 v8, vcc_lo, v9, v8
	v_add_co_ci_u32_e32 v9, vcc_lo, 0, v10, vcc_lo
	v_add_co_u32 v4, vcc_lo, v4, v8
	v_add_co_ci_u32_e32 v11, vcc_lo, v7, v9, vcc_lo
	v_mul_hi_u32 v13, v5, v4
	v_mad_u64_u32 v[9:10], null, v6, v4, 0
	v_mad_u64_u32 v[7:8], null, v5, v11, 0
	;; [unrolled: 1-line block ×3, first 2 shown]
	v_add_co_u32 v4, vcc_lo, v13, v7
	v_add_co_ci_u32_e32 v7, vcc_lo, 0, v8, vcc_lo
	v_add_co_u32 v4, vcc_lo, v4, v9
	v_add_co_ci_u32_e32 v4, vcc_lo, v7, v10, vcc_lo
	v_add_co_ci_u32_e32 v7, vcc_lo, 0, v12, vcc_lo
	v_add_co_u32 v4, vcc_lo, v4, v11
	v_add_co_ci_u32_e32 v9, vcc_lo, 0, v7, vcc_lo
	v_mul_lo_u32 v10, s21, v4
	v_mad_u64_u32 v[7:8], null, s20, v4, 0
	v_mul_lo_u32 v11, s20, v9
	v_sub_co_u32 v7, vcc_lo, v5, v7
	v_add3_u32 v8, v8, v11, v10
	v_sub_nc_u32_e32 v10, v6, v8
	v_subrev_co_ci_u32_e64 v10, s0, s21, v10, vcc_lo
	v_add_co_u32 v11, s0, v4, 2
	v_add_co_ci_u32_e64 v12, s0, 0, v9, s0
	v_sub_co_u32 v13, s0, v7, s20
	v_sub_co_ci_u32_e32 v8, vcc_lo, v6, v8, vcc_lo
	v_subrev_co_ci_u32_e64 v10, s0, 0, v10, s0
	v_cmp_le_u32_e32 vcc_lo, s20, v13
	v_cmp_eq_u32_e64 s0, s21, v8
	v_cndmask_b32_e64 v13, 0, -1, vcc_lo
	v_cmp_le_u32_e32 vcc_lo, s21, v10
	v_cndmask_b32_e64 v14, 0, -1, vcc_lo
	v_cmp_le_u32_e32 vcc_lo, s20, v7
	;; [unrolled: 2-line block ×3, first 2 shown]
	v_cndmask_b32_e64 v15, 0, -1, vcc_lo
	v_cmp_eq_u32_e32 vcc_lo, s21, v10
	v_cndmask_b32_e64 v7, v15, v7, s0
	v_cndmask_b32_e32 v10, v14, v13, vcc_lo
	v_add_co_u32 v13, vcc_lo, v4, 1
	v_add_co_ci_u32_e32 v14, vcc_lo, 0, v9, vcc_lo
	v_cmp_ne_u32_e32 vcc_lo, 0, v10
	v_cndmask_b32_e32 v8, v14, v12, vcc_lo
	v_cndmask_b32_e32 v10, v13, v11, vcc_lo
	v_cmp_ne_u32_e32 vcc_lo, 0, v7
	v_cndmask_b32_e32 v8, v9, v8, vcc_lo
	v_cndmask_b32_e32 v7, v4, v10, vcc_lo
.LBB0_4:                                ;   in Loop: Header=BB0_2 Depth=1
	s_andn2_saveexec_b32 s0, s1
	s_cbranch_execz .LBB0_6
; %bb.5:                                ;   in Loop: Header=BB0_2 Depth=1
	v_cvt_f32_u32_e32 v4, s20
	s_sub_i32 s1, 0, s20
	v_rcp_iflag_f32_e32 v4, v4
	v_mul_f32_e32 v4, 0x4f7ffffe, v4
	v_cvt_u32_f32_e32 v4, v4
	v_mul_lo_u32 v7, s1, v4
	v_mul_hi_u32 v7, v4, v7
	v_add_nc_u32_e32 v4, v4, v7
	v_mul_hi_u32 v4, v5, v4
	v_mul_lo_u32 v7, v4, s20
	v_add_nc_u32_e32 v8, 1, v4
	v_sub_nc_u32_e32 v7, v5, v7
	v_subrev_nc_u32_e32 v9, s20, v7
	v_cmp_le_u32_e32 vcc_lo, s20, v7
	v_cndmask_b32_e32 v7, v7, v9, vcc_lo
	v_cndmask_b32_e32 v4, v4, v8, vcc_lo
	v_cmp_le_u32_e32 vcc_lo, s20, v7
	v_add_nc_u32_e32 v8, 1, v4
	v_cndmask_b32_e32 v7, v4, v8, vcc_lo
	v_mov_b32_e32 v8, v3
.LBB0_6:                                ;   in Loop: Header=BB0_2 Depth=1
	s_or_b32 exec_lo, exec_lo, s0
	s_load_dwordx2 s[0:1], s[6:7], 0x0
	v_mul_lo_u32 v4, v8, s20
	v_mul_lo_u32 v11, v7, s21
	v_mad_u64_u32 v[9:10], null, v7, s20, 0
	s_add_u32 s18, s18, 1
	s_addc_u32 s19, s19, 0
	s_add_u32 s6, s6, 8
	s_addc_u32 s7, s7, 0
	s_add_u32 s16, s16, 8
	s_addc_u32 s17, s17, 0
	v_add3_u32 v4, v10, v11, v4
	v_sub_co_u32 v5, vcc_lo, v5, v9
	v_sub_co_ci_u32_e32 v4, vcc_lo, v6, v4, vcc_lo
	s_waitcnt lgkmcnt(0)
	v_mul_lo_u32 v6, s1, v5
	v_mul_lo_u32 v4, s0, v4
	v_mad_u64_u32 v[1:2], null, s0, v5, v[1:2]
	v_cmp_ge_u64_e64 s0, s[18:19], s[10:11]
	s_and_b32 vcc_lo, exec_lo, s0
	v_add3_u32 v2, v6, v2, v4
	s_cbranch_vccnz .LBB0_9
; %bb.7:                                ;   in Loop: Header=BB0_2 Depth=1
	v_mov_b32_e32 v5, v7
	v_mov_b32_e32 v6, v8
	s_branch .LBB0_2
.LBB0_8:
	v_mov_b32_e32 v8, v6
	v_mov_b32_e32 v7, v5
.LBB0_9:
	s_lshl_b64 s[0:1], s[10:11], 3
	v_mul_hi_u32 v3, 0x28f5c29, v0
	s_add_u32 s0, s14, s0
	s_addc_u32 s1, s15, s1
	s_load_dwordx2 s[4:5], s[4:5], 0x20
	s_load_dwordx2 s[0:1], s[0:1], 0x0
                                        ; implicit-def: $vgpr18_vgpr19
                                        ; implicit-def: $vgpr14_vgpr15
                                        ; implicit-def: $vgpr22_vgpr23
                                        ; implicit-def: $vgpr42_vgpr43
                                        ; implicit-def: $vgpr46_vgpr47
                                        ; implicit-def: $vgpr26_vgpr27
                                        ; implicit-def: $vgpr10_vgpr11
                                        ; implicit-def: $vgpr54_vgpr55
                                        ; implicit-def: $vgpr50_vgpr51
                                        ; implicit-def: $vgpr62_vgpr63
                                        ; implicit-def: $vgpr58_vgpr59
                                        ; implicit-def: $vgpr66_vgpr67
                                        ; implicit-def: $vgpr86_vgpr87
                                        ; implicit-def: $vgpr82_vgpr83
                                        ; implicit-def: $vgpr78_vgpr79
                                        ; implicit-def: $vgpr74_vgpr75
                                        ; implicit-def: $vgpr70_vgpr71
                                        ; implicit-def: $vgpr30_vgpr31
                                        ; implicit-def: $vgpr38_vgpr39
                                        ; implicit-def: $vgpr34_vgpr35
	v_mul_u32_u24_e32 v3, 0x64, v3
	v_sub_nc_u32_e32 v126, v0, v3
	v_add_nc_u32_e32 v127, 0xa0, v126
	v_add_nc_u32_e32 v128, 0x140, v126
	;; [unrolled: 1-line block ×3, first 2 shown]
	v_or_b32_e32 v130, 0x280, v126
	v_add_nc_u32_e32 v131, 0x320, v126
	s_waitcnt lgkmcnt(0)
	v_cmp_gt_u64_e32 vcc_lo, s[4:5], v[7:8]
	v_mul_lo_u32 v3, s0, v8
	v_mul_lo_u32 v4, s1, v7
	v_mad_u64_u32 v[0:1], null, s0, v7, v[1:2]
	v_add_nc_u32_e32 v132, 0x3c0, v126
	v_add_nc_u32_e32 v133, 0x460, v126
	v_or_b32_e32 v134, 0x500, v126
	v_add_nc_u32_e32 v135, 0x5a0, v126
	v_add3_u32 v1, v4, v1, v3
	v_lshlrev_b64 v[88:89], 4, v[0:1]
	s_and_saveexec_b32 s1, vcc_lo
	s_cbranch_execz .LBB0_13
; %bb.10:
	v_mad_u64_u32 v[2:3], null, s2, v126, 0
	v_mad_u64_u32 v[4:5], null, s2, v127, 0
	;; [unrolled: 1-line block ×4, first 2 shown]
	v_mov_b32_e32 v0, v3
	v_mad_u64_u32 v[24:25], null, s2, v130, 0
	v_mov_b32_e32 v1, v5
	v_mov_b32_e32 v5, v7
	v_mad_u64_u32 v[26:27], null, s2, v131, 0
	v_mov_b32_e32 v7, v9
	v_mad_u64_u32 v[10:11], null, s3, v126, v[0:1]
	v_mad_u64_u32 v[11:12], null, s3, v127, v[1:2]
	v_add_co_u32 v0, s0, s12, v88
	v_add_co_ci_u32_e64 v1, s0, s13, v89, s0
	v_mov_b32_e32 v3, v10
	v_mad_u64_u32 v[9:10], null, s3, v128, v[5:6]
	v_mov_b32_e32 v5, v11
	v_mad_u64_u32 v[10:11], null, s3, v129, v[7:8]
	v_lshlrev_b64 v[2:3], 4, v[2:3]
	v_mad_u64_u32 v[28:29], null, s2, v132, 0
	v_mov_b32_e32 v7, v9
	v_lshlrev_b64 v[4:5], 4, v[4:5]
	v_mad_u64_u32 v[30:31], null, s2, v133, 0
	v_mov_b32_e32 v9, v10
	v_mov_b32_e32 v10, v25
	v_add_co_u32 v2, s0, v0, v2
	v_lshlrev_b64 v[6:7], 4, v[6:7]
	v_add_co_ci_u32_e64 v3, s0, v1, v3, s0
	v_mad_u64_u32 v[10:11], null, s3, v130, v[10:11]
	v_add_co_u32 v4, s0, v0, v4
	v_lshlrev_b64 v[8:9], 4, v[8:9]
	v_add_co_ci_u32_e64 v5, s0, v1, v5, s0
	v_add_co_u32 v6, s0, v0, v6
	v_add_co_ci_u32_e64 v7, s0, v1, v7, s0
	v_mov_b32_e32 v11, v27
	v_mov_b32_e32 v25, v10
	v_add_co_u32 v8, s0, v0, v8
	v_add_co_ci_u32_e64 v9, s0, v1, v9, s0
	v_mad_u64_u32 v[10:11], null, s3, v131, v[11:12]
	s_clause 0x3
	global_load_dwordx4 v[32:35], v[2:3], off
	global_load_dwordx4 v[16:19], v[4:5], off
	global_load_dwordx4 v[12:15], v[6:7], off
	global_load_dwordx4 v[20:23], v[8:9], off
	v_lshlrev_b64 v[3:4], 4, v[24:25]
	v_mov_b32_e32 v2, v29
	v_mov_b32_e32 v5, v31
	s_mov_b32 s4, exec_lo
                                        ; implicit-def: $vgpr68_vgpr69
                                        ; implicit-def: $vgpr72_vgpr73
                                        ; implicit-def: $vgpr76_vgpr77
                                        ; implicit-def: $vgpr80_vgpr81
                                        ; implicit-def: $vgpr84_vgpr85
                                        ; implicit-def: $vgpr64_vgpr65
                                        ; implicit-def: $vgpr56_vgpr57
                                        ; implicit-def: $vgpr60_vgpr61
                                        ; implicit-def: $vgpr48_vgpr49
                                        ; implicit-def: $vgpr52_vgpr53
	v_mov_b32_e32 v27, v10
	v_mad_u64_u32 v[6:7], null, s3, v132, v[2:3]
	v_mad_u64_u32 v[7:8], null, s2, v134, 0
	v_add_co_u32 v2, s0, v0, v3
	v_add_co_ci_u32_e64 v3, s0, v1, v4, s0
	v_mad_u64_u32 v[9:10], null, s3, v133, v[5:6]
	v_mad_u64_u32 v[10:11], null, s2, v135, 0
	v_mov_b32_e32 v4, v8
	v_mov_b32_e32 v29, v6
	v_lshlrev_b64 v[24:25], 4, v[26:27]
	v_mov_b32_e32 v31, v9
	v_mad_u64_u32 v[4:5], null, s3, v134, v[4:5]
	v_mov_b32_e32 v5, v11
	v_lshlrev_b64 v[26:27], 4, v[28:29]
	v_add_co_u32 v24, s0, v0, v24
	v_lshlrev_b64 v[28:29], 4, v[30:31]
	v_mad_u64_u32 v[5:6], null, s3, v135, v[5:6]
	v_mov_b32_e32 v8, v4
	v_add_co_ci_u32_e64 v25, s0, v1, v25, s0
	v_add_co_u32 v26, s0, v0, v26
	v_lshlrev_b64 v[6:7], 4, v[7:8]
	v_mov_b32_e32 v11, v5
	v_add_co_ci_u32_e64 v27, s0, v1, v27, s0
	v_add_co_u32 v4, s0, v0, v28
	v_lshlrev_b64 v[8:9], 4, v[10:11]
	v_add_co_ci_u32_e64 v5, s0, v1, v29, s0
	v_add_co_u32 v6, s0, v0, v6
	v_add_co_ci_u32_e64 v7, s0, v1, v7, s0
	v_add_co_u32 v28, s0, v0, v8
	v_add_co_ci_u32_e64 v29, s0, v1, v9, s0
	s_clause 0x5
	global_load_dwordx4 v[40:43], v[2:3], off
	global_load_dwordx4 v[44:47], v[24:25], off
	;; [unrolled: 1-line block ×6, first 2 shown]
	v_cmpx_gt_u32_e32 60, v126
	s_cbranch_execz .LBB0_12
; %bb.11:
	v_add_nc_u32_e32 v48, 0x64, v126
	v_add_nc_u32_e32 v50, 0x104, v126
	;; [unrolled: 1-line block ×5, first 2 shown]
	v_mad_u64_u32 v[2:3], null, s2, v48, 0
	v_mad_u64_u32 v[4:5], null, s2, v50, 0
	;; [unrolled: 1-line block ×6, first 2 shown]
	v_mov_b32_e32 v3, v7
	v_mad_u64_u32 v[49:50], null, s3, v50, v[5:6]
	v_mov_b32_e32 v7, v57
	v_add_nc_u32_e32 v72, 0x424, v126
	v_mad_u64_u32 v[50:51], null, s3, v51, v[3:4]
	v_mov_b32_e32 v3, v48
	s_waitcnt vmcnt(1)
	v_mad_u64_u32 v[57:58], null, s3, v52, v[7:8]
	v_mov_b32_e32 v5, v49
	v_add_nc_u32_e32 v58, 0x384, v126
	v_lshlrev_b64 v[2:3], 4, v[2:3]
	v_mov_b32_e32 v7, v50
	v_mad_u64_u32 v[68:69], null, s2, v72, 0
	v_lshlrev_b64 v[4:5], 4, v[4:5]
	v_mad_u64_u32 v[66:67], null, s2, v58, 0
	v_add_co_u32 v2, s0, v0, v2
	v_add_co_ci_u32_e64 v3, s0, v1, v3, s0
	v_add_co_u32 v4, s0, v0, v4
	v_lshlrev_b64 v[6:7], 4, v[6:7]
	v_add_co_ci_u32_e64 v5, s0, v1, v5, s0
	s_clause 0x1
	global_load_dwordx4 v[52:55], v[2:3], off
	global_load_dwordx4 v[48:51], v[4:5], off
	v_add_co_u32 v2, s0, v0, v6
	v_lshlrev_b64 v[5:6], 4, v[56:57]
	v_mov_b32_e32 v4, v65
	v_add_co_ci_u32_e64 v3, s0, v1, v7, s0
	v_add_nc_u32_e32 v73, 0x4c4, v126
	v_add_nc_u32_e32 v74, 0x564, v126
	v_mad_u64_u32 v[56:57], null, s3, v59, v[4:5]
	v_add_co_u32 v4, s0, v0, v5
	v_add_co_ci_u32_e64 v5, s0, v1, v6, s0
	v_mov_b32_e32 v6, v67
	v_mad_u64_u32 v[70:71], null, s2, v73, 0
	v_mov_b32_e32 v65, v56
	v_add_nc_u32_e32 v76, 0x604, v126
	v_mad_u64_u32 v[6:7], null, s3, v58, v[6:7]
	s_clause 0x1
	global_load_dwordx4 v[60:63], v[2:3], off
	global_load_dwordx4 v[56:59], v[4:5], off
	v_lshlrev_b64 v[3:4], 4, v[64:65]
	v_mov_b32_e32 v2, v69
	v_mov_b32_e32 v67, v6
	v_mad_u64_u32 v[5:6], null, s3, v72, v[2:3]
	v_mad_u64_u32 v[6:7], null, s2, v74, 0
	v_mov_b32_e32 v2, v71
	v_mov_b32_e32 v69, v5
	v_mad_u64_u32 v[64:65], null, s3, v73, v[2:3]
	v_mad_u64_u32 v[72:73], null, s2, v76, 0
	v_add_co_u32 v2, s0, v0, v3
	v_add_co_ci_u32_e64 v3, s0, v1, v4, s0
	v_mov_b32_e32 v4, v7
	v_lshlrev_b64 v[65:66], 4, v[66:67]
	v_mov_b32_e32 v71, v64
	v_mad_u64_u32 v[4:5], null, s3, v74, v[4:5]
	v_mov_b32_e32 v5, v73
	v_add_co_u32 v74, s0, v0, v65
	v_add_co_ci_u32_e64 v75, s0, v1, v66, s0
	v_mad_u64_u32 v[66:67], null, s3, v76, v[5:6]
	v_lshlrev_b64 v[64:65], 4, v[68:69]
	v_mov_b32_e32 v7, v4
	v_lshlrev_b64 v[67:68], 4, v[70:71]
	v_mov_b32_e32 v73, v66
	v_add_co_u32 v4, s0, v0, v64
	v_lshlrev_b64 v[6:7], 4, v[6:7]
	v_add_co_ci_u32_e64 v5, s0, v1, v65, s0
	v_add_co_u32 v76, s0, v0, v67
	v_lshlrev_b64 v[64:65], 4, v[72:73]
	v_add_co_ci_u32_e64 v77, s0, v1, v68, s0
	v_add_co_u32 v6, s0, v0, v6
	v_add_co_ci_u32_e64 v7, s0, v1, v7, s0
	v_add_co_u32 v0, s0, v0, v64
	v_add_co_ci_u32_e64 v1, s0, v1, v65, s0
	s_clause 0x5
	global_load_dwordx4 v[64:67], v[2:3], off
	global_load_dwordx4 v[68:71], v[74:75], off
	;; [unrolled: 1-line block ×6, first 2 shown]
.LBB0_12:
	s_or_b32 exec_lo, exec_lo, s4
.LBB0_13:
	s_or_b32 exec_lo, exec_lo, s1
	s_waitcnt vmcnt(2)
	v_add_f64 v[0:1], v[44:45], v[24:25]
	s_waitcnt vmcnt(0)
	v_add_f64 v[100:101], v[20:21], v[28:29]
	v_add_f64 v[106:107], v[46:47], v[26:27]
	;; [unrolled: 1-line block ×5, first 2 shown]
	v_add_f64 v[118:119], v[22:23], -v[30:31]
	s_mov_b32 s16, 0x134454ff
	s_mov_b32 s17, 0x3fee6f0e
	;; [unrolled: 1-line block ×4, first 2 shown]
	v_add_f64 v[2:3], v[12:13], -v[40:41]
	v_add_f64 v[4:5], v[8:9], -v[36:37]
	;; [unrolled: 1-line block ×11, first 2 shown]
	v_fma_f64 v[0:1], v[0:1], -0.5, v[16:17]
	v_fma_f64 v[100:101], v[100:101], -0.5, v[16:17]
	;; [unrolled: 1-line block ×3, first 2 shown]
	v_add_f64 v[143:144], v[76:77], v[68:69]
	v_fma_f64 v[112:113], v[112:113], -0.5, v[32:33]
	v_fma_f64 v[114:115], v[114:115], -0.5, v[32:33]
	v_fma_f64 v[116:117], v[116:117], -0.5, v[18:19]
	v_add_f64 v[157:158], v[56:57], v[84:85]
	v_add_f64 v[159:160], v[58:59], v[86:87]
	s_mov_b32 s14, 0x4755a5e
	s_mov_b32 s15, 0x3fe2cf23
	;; [unrolled: 1-line block ×4, first 2 shown]
	v_add_f64 v[96:97], v[44:45], -v[20:21]
	v_add_f64 v[98:99], v[24:25], -v[28:29]
	;; [unrolled: 1-line block ×8, first 2 shown]
	v_add_f64 v[165:166], v[78:79], v[70:71]
	v_fma_f64 v[151:152], v[118:119], s[16:17], v[0:1]
	v_fma_f64 v[0:1], v[118:119], s[4:5], v[0:1]
	;; [unrolled: 1-line block ×5, first 2 shown]
	v_add_f64 v[92:93], v[92:93], v[94:95]
	v_fma_f64 v[94:95], v[143:144], -0.5, v[48:49]
	v_fma_f64 v[143:144], v[120:121], s[16:17], v[112:113]
	v_fma_f64 v[112:113], v[120:121], s[4:5], v[112:113]
	;; [unrolled: 1-line block ×7, first 2 shown]
	v_add_f64 v[175:176], v[68:69], -v[76:77]
	v_add_f64 v[2:3], v[2:3], v[4:5]
	v_add_f64 v[4:5], v[6:7], v[90:91]
	v_fma_f64 v[6:7], v[159:160], -0.5, v[50:51]
	s_mov_b32 s10, 0x372fe950
	s_mov_b32 s11, 0x3fd3c6ef
	v_add_f64 v[141:142], v[56:57], -v[68:69]
	v_add_f64 v[145:146], v[84:85], -v[76:77]
	v_fma_f64 v[151:152], v[124:125], s[14:15], v[151:152]
	v_fma_f64 v[0:1], v[124:125], s[6:7], v[0:1]
	v_fma_f64 v[124:125], v[157:158], -0.5, v[48:49]
	v_add_f64 v[147:148], v[68:69], -v[56:57]
	v_add_f64 v[149:150], v[76:77], -v[84:85]
	v_add_f64 v[153:154], v[64:65], v[72:73]
	v_add_f64 v[155:156], v[60:61], v[80:81]
	v_add_f64 v[96:97], v[96:97], v[98:99]
	v_add_f64 v[102:103], v[102:103], v[104:105]
	v_add_f64 v[104:105], v[108:109], v[110:111]
	v_fma_f64 v[108:109], v[118:119], s[14:15], v[167:168]
	v_fma_f64 v[100:101], v[118:119], s[6:7], v[100:101]
	;; [unrolled: 1-line block ×3, first 2 shown]
	v_fma_f64 v[118:119], v[165:166], -0.5, v[50:51]
	v_fma_f64 v[157:158], v[161:162], s[16:17], v[94:95]
	v_fma_f64 v[143:144], v[122:123], s[14:15], v[143:144]
	;; [unrolled: 1-line block ×9, first 2 shown]
	v_add_f64 v[137:138], v[56:57], -v[84:85]
	v_fma_f64 v[90:91], v[92:93], s[10:11], v[0:1]
	v_add_f64 v[0:1], v[70:71], -v[58:59]
	v_add_f64 v[92:93], v[78:79], -v[86:87]
	v_fma_f64 v[139:140], v[175:176], s[16:17], v[6:7]
	v_fma_f64 v[151:152], v[163:164], s[16:17], v[124:125]
	;; [unrolled: 1-line block ×3, first 2 shown]
	v_add_f64 v[159:160], v[12:13], v[32:33]
	v_add_f64 v[165:166], v[16:17], v[20:21]
	v_fma_f64 v[16:17], v[96:97], s[10:11], v[108:109]
	v_fma_f64 v[20:21], v[96:97], s[10:11], v[100:101]
	;; [unrolled: 1-line block ×3, first 2 shown]
	v_add_f64 v[108:109], v[145:146], v[141:142]
	v_add_f64 v[110:111], v[149:150], v[147:148]
	v_add_f64 v[96:97], v[58:59], -v[70:71]
	v_add_f64 v[141:142], v[86:87], -v[78:79]
	v_fma_f64 v[145:146], v[153:154], -0.5, v[52:53]
	v_add_f64 v[147:148], v[62:63], -v[82:83]
	v_fma_f64 v[149:150], v[155:156], -0.5, v[52:53]
	v_add_f64 v[153:154], v[66:67], -v[74:75]
	v_fma_f64 v[124:125], v[163:164], s[4:5], v[124:125]
	v_fma_f64 v[155:156], v[163:164], s[14:15], v[157:158]
	;; [unrolled: 1-line block ×5, first 2 shown]
	v_add_f64 v[0:1], v[92:93], v[0:1]
	v_fma_f64 v[92:93], v[137:138], s[6:7], v[139:140]
	v_fma_f64 v[139:140], v[161:162], s[6:7], v[151:152]
	;; [unrolled: 1-line block ×3, first 2 shown]
	v_add_f64 v[159:160], v[40:41], v[159:160]
	v_add_f64 v[163:164], v[165:166], v[44:45]
	v_fma_f64 v[100:101], v[102:103], s[10:11], v[106:107]
	v_fma_f64 v[44:45], v[104:105], s[10:11], v[120:121]
	;; [unrolled: 1-line block ×3, first 2 shown]
	v_add_f64 v[106:107], v[60:61], -v[64:65]
	v_add_f64 v[116:117], v[80:81], -v[72:73]
	;; [unrolled: 1-line block ×4, first 2 shown]
	v_add_f64 v[141:142], v[141:142], v[96:97]
	v_fma_f64 v[167:168], v[147:148], s[16:17], v[145:146]
	v_fma_f64 v[145:146], v[147:148], s[4:5], v[145:146]
	;; [unrolled: 1-line block ×12, first 2 shown]
	s_mov_b32 s18, 0x9b97f4a8
	s_mov_b32 s19, 0x3fe9e377
	v_add_f64 v[137:138], v[36:37], v[159:160]
	v_add_f64 v[139:140], v[163:164], v[24:25]
	v_mul_f64 v[151:152], v[32:33], s[14:15]
	v_mul_f64 v[155:156], v[16:17], s[10:11]
	;; [unrolled: 1-line block ×4, first 2 shown]
	v_add_f64 v[116:117], v[106:107], v[116:117]
	v_add_f64 v[163:164], v[120:121], v[165:166]
	v_fma_f64 v[120:121], v[153:154], s[14:15], v[167:168]
	v_fma_f64 v[145:146], v[153:154], s[6:7], v[145:146]
	;; [unrolled: 1-line block ×8, first 2 shown]
	v_mul_f64 v[0:1], v[102:103], s[18:19]
	v_mul_f64 v[6:7], v[96:97], s[16:17]
	;; [unrolled: 1-line block ×4, first 2 shown]
	v_fma_f64 v[143:144], v[2:3], s[10:11], v[143:144]
	v_fma_f64 v[2:3], v[2:3], s[10:11], v[112:113]
	v_add_f64 v[137:138], v[8:9], v[137:138]
	v_add_f64 v[149:150], v[139:140], v[28:29]
	v_fma_f64 v[151:152], v[98:99], s[18:19], v[151:152]
	v_fma_f64 v[157:158], v[4:5], s[10:11], v[122:123]
	;; [unrolled: 1-line block ×4, first 2 shown]
	v_fma_f64 v[159:160], v[104:105], s[16:17], -v[159:160]
	v_fma_f64 v[161:162], v[100:101], s[14:15], -v[161:162]
	v_fma_f64 v[28:29], v[116:117], s[10:11], v[120:121]
	v_fma_f64 v[120:121], v[116:117], s[10:11], v[145:146]
	;; [unrolled: 1-line block ×4, first 2 shown]
	v_and_b32_e32 v136, 1, v136
	v_fma_f64 v[112:113], v[24:25], s[14:15], v[0:1]
	v_fma_f64 v[116:117], v[108:109], s[10:11], v[6:7]
	v_fma_f64 v[122:123], v[110:111], s[16:17], -v[124:125]
	v_fma_f64 v[124:125], v[106:107], s[14:15], -v[141:142]
	v_cmp_eq_u32_e64 s0, 1, v136
	v_add_f64 v[139:140], v[149:150], v[137:138]
	v_add_f64 v[145:146], v[137:138], -v[149:150]
	v_add_f64 v[141:142], v[151:152], v[143:144]
	v_add_f64 v[147:148], v[143:144], -v[151:152]
	v_add_f64 v[149:150], v[157:158], -v[155:156]
	v_add_f64 v[151:152], v[157:158], v[155:156]
	v_add_f64 v[153:154], v[4:5], v[159:160]
	;; [unrolled: 1-line block ×3, first 2 shown]
	v_add_f64 v[155:156], v[4:5], -v[159:160]
	v_add_f64 v[157:158], v[2:3], -v[161:162]
	v_mul_u32_u24_e32 v137, 10, v126
	v_cndmask_b32_e64 v138, 0, 0x640, s0
	v_cmp_gt_u32_e64 s0, 60, v126
	v_add_f64 v[4:5], v[28:29], -v[112:113]
	v_add_f64 v[6:7], v[114:115], -v[116:117]
	;; [unrolled: 1-line block ×4, first 2 shown]
	v_lshl_add_u32 v137, v137, 3, 0
	v_lshl_add_u32 v136, v138, 3, v137
	ds_write_b128 v136, v[139:142]
	ds_write_b128 v136, v[151:154] offset:16
	ds_write_b128 v136, v[143:146] offset:32
	;; [unrolled: 1-line block ×4, first 2 shown]
	s_and_saveexec_b32 s1, s0
	s_cbranch_execz .LBB0_15
; %bb.14:
	v_add_f64 v[52:53], v[52:53], v[60:61]
	v_add_f64 v[48:49], v[48:49], v[56:57]
	;; [unrolled: 1-line block ×13, first 2 shown]
	v_add_f64 v[122:123], v[52:53], -v[48:49]
	ds_write_b128 v136, v[4:7] offset:8048
	ds_write_b128 v136, v[116:119] offset:8016
	;; [unrolled: 1-line block ×5, first 2 shown]
.LBB0_15:
	s_or_b32 exec_lo, exec_lo, s1
	v_add_f64 v[28:29], v[42:43], v[38:39]
	v_add_f64 v[48:49], v[14:15], v[10:11]
	;; [unrolled: 1-line block ×5, first 2 shown]
	v_add_f64 v[8:9], v[12:13], -v[8:9]
	v_add_f64 v[12:13], v[18:19], v[22:23]
	v_add_f64 v[18:19], v[40:41], -v[36:37]
	v_add_f64 v[40:41], v[60:61], -v[80:81]
	;; [unrolled: 1-line block ×4, first 2 shown]
	v_mul_f64 v[76:77], v[104:105], s[10:11]
	v_mul_f64 v[80:81], v[100:101], s[18:19]
	v_add_f64 v[84:85], v[62:63], -v[66:67]
	v_add_f64 v[104:105], v[66:67], -v[62:63]
	;; [unrolled: 1-line block ×3, first 2 shown]
	v_mul_f64 v[106:107], v[106:107], s[18:19]
	s_waitcnt lgkmcnt(0)
	s_barrier
	buffer_gl0_inv
	v_fma_f64 v[22:23], v[28:29], -0.5, v[34:35]
	v_fma_f64 v[28:29], v[48:49], -0.5, v[34:35]
	v_add_f64 v[48:49], v[64:65], -v[72:73]
	v_fma_f64 v[52:53], v[52:53], -0.5, v[54:55]
	v_fma_f64 v[56:57], v[56:57], -0.5, v[54:55]
	v_add_f64 v[34:35], v[14:15], -v[42:43]
	v_add_f64 v[14:15], v[42:43], -v[14:15]
	v_mul_f64 v[64:65], v[98:99], s[6:7]
	v_mul_f64 v[72:73], v[16:17], s[4:5]
	v_add_f64 v[99:100], v[82:83], -v[74:75]
	v_add_f64 v[16:17], v[42:43], v[68:69]
	v_add_f64 v[12:13], v[12:13], v[46:47]
	v_mul_f64 v[42:43], v[102:103], s[6:7]
	v_lshlrev_b32_e32 v98, 3, v138
	v_mul_i32_i24_e32 v103, 0xffffffb8, v126
	v_mul_f64 v[101:102], v[108:109], s[4:5]
	v_mul_f64 v[108:109], v[110:111], s[10:11]
	v_fma_f64 v[76:77], v[20:21], s[4:5], -v[76:77]
	v_fma_f64 v[120:121], v[90:91], s[6:7], -v[80:81]
	v_add3_u32 v111, v137, v103, v98
	v_lshlrev_b32_e32 v110, 3, v126
	v_fma_f64 v[46:47], v[8:9], s[4:5], v[22:23]
	v_fma_f64 v[68:69], v[18:19], s[16:17], v[28:29]
	;; [unrolled: 1-line block ×8, first 2 shown]
	v_add_f64 v[34:35], v[34:35], v[36:37]
	v_add_f64 v[14:15], v[14:15], v[60:61]
	;; [unrolled: 1-line block ×5, first 2 shown]
	v_fma_f64 v[44:45], v[44:45], s[10:11], v[72:73]
	v_add3_u32 v112, 0, v98, v110
	v_add_nc_u32_e32 v91, 0x2000, v111
	v_add_nc_u32_e32 v113, 0x1800, v111
	;; [unrolled: 1-line block ×4, first 2 shown]
	v_fma_f64 v[26:27], v[18:19], s[6:7], v[46:47]
	v_fma_f64 v[38:39], v[8:9], s[6:7], v[68:69]
	v_fma_f64 v[8:9], v[8:9], s[14:15], v[28:29]
	v_fma_f64 v[22:23], v[18:19], s[14:15], v[22:23]
	v_add_f64 v[28:29], v[84:85], v[99:100]
	v_fma_f64 v[68:69], v[48:49], s[6:7], v[115:116]
	v_fma_f64 v[103:104], v[40:41], s[6:7], v[117:118]
	;; [unrolled: 1-line block ×5, first 2 shown]
	v_add_f64 v[10:11], v[10:11], v[36:37]
	v_add_f64 v[12:13], v[12:13], v[30:31]
	v_fma_f64 v[64:65], v[24:25], s[18:19], v[42:43]
	v_fma_f64 v[56:57], v[96:97], s[10:11], v[101:102]
	v_fma_f64 v[48:49], v[94:95], s[4:5], -v[108:109]
	v_fma_f64 v[46:47], v[92:93], s[6:7], -v[106:107]
	v_add_nc_u32_e32 v99, 0x800, v111
	v_add_nc_u32_e32 v84, 0xc00, v111
	;; [unrolled: 1-line block ×3, first 2 shown]
	ds_read2_b64 v[16:19], v111 offset0:100 offset1:200
	v_fma_f64 v[116:117], v[34:35], s[10:11], v[26:27]
	v_fma_f64 v[38:39], v[14:15], s[10:11], v[38:39]
	;; [unrolled: 1-line block ×8, first 2 shown]
	ds_read_b64 v[24:25], v112
	ds_read_b64 v[80:81], v111 offset:12000
	ds_read2_b64 v[30:33], v99 offset0:44 offset1:144
	ds_read2_b64 v[20:23], v84 offset0:116 offset1:216
	;; [unrolled: 1-line block ×4, first 2 shown]
	v_add_f64 v[92:93], v[12:13], v[10:11]
	v_add_f64 v[102:103], v[10:11], -v[12:13]
	v_add_f64 v[94:95], v[116:117], v[114:115]
	v_add_f64 v[104:105], v[38:39], v[44:45]
	;; [unrolled: 1-line block ×4, first 2 shown]
	v_add_f64 v[118:119], v[8:9], -v[76:77]
	v_add_f64 v[120:121], v[14:15], -v[120:121]
	;; [unrolled: 1-line block ×8, first 2 shown]
	ds_read2_b64 v[42:45], v91 offset0:76 offset1:176
	ds_read2_b64 v[38:41], v90 offset0:20 offset1:120
	s_waitcnt lgkmcnt(0)
	s_barrier
	buffer_gl0_inv
	ds_write_b128 v136, v[92:95]
	ds_write_b128 v136, v[104:107] offset:16
	ds_write_b128 v136, v[100:103] offset:32
	ds_write_b128 v136, v[114:117] offset:48
	ds_write_b128 v136, v[118:121] offset:64
	s_and_saveexec_b32 s1, s0
	s_cbranch_execz .LBB0_17
; %bb.16:
	v_add_f64 v[54:55], v[54:55], v[62:63]
	v_add_f64 v[50:51], v[50:51], v[58:59]
	;; [unrolled: 1-line block ×3, first 2 shown]
	v_mul_u32_u24_e32 v46, 10, v110
	v_lshlrev_b32_e32 v46, 3, v46
	v_add3_u32 v46, 0, v46, v98
	v_add_f64 v[54:55], v[54:55], v[66:67]
	v_add_f64 v[50:51], v[50:51], v[70:71]
	;; [unrolled: 1-line block ×10, first 2 shown]
	v_add_f64 v[60:61], v[62:63], -v[66:67]
	ds_write_b128 v46, v[8:11] offset:48
	ds_write_b128 v46, v[54:57] offset:16
	ds_write_b128 v46, v[48:51]
	ds_write_b128 v46, v[58:61] offset:32
	ds_write_b128 v46, v[12:15] offset:64
.LBB0_17:
	s_or_b32 exec_lo, exec_lo, s1
	v_and_b32_e32 v46, 0xff, v126
	v_mov_b32_e32 v47, 15
	s_waitcnt lgkmcnt(0)
	s_barrier
	buffer_gl0_inv
	v_mul_lo_u16 v46, 0xcd, v46
	s_mov_b32 s16, 0x667f3bcd
	s_mov_b32 s17, 0x3fe6a09e
	;; [unrolled: 1-line block ×4, first 2 shown]
	v_lshrrev_b16 v55, 11, v46
	s_mov_b32 s10, 0xcf328d46
	s_mov_b32 s11, 0xbfed906b
	;; [unrolled: 1-line block ×4, first 2 shown]
	v_mul_lo_u16 v46, v55, 10
	s_mov_b32 s14, 0xa6aea964
	s_mov_b32 s15, 0xbfd87de2
	;; [unrolled: 1-line block ×4, first 2 shown]
	v_sub_nc_u16 v54, v126, v46
	v_mul_u32_u24_sdwa v46, v54, v47 dst_sel:DWORD dst_unused:UNUSED_PAD src0_sel:BYTE_0 src1_sel:DWORD
	v_lshlrev_b32_e32 v60, 4, v46
	s_clause 0xe
	global_load_dwordx4 v[68:71], v60, s[8:9]
	global_load_dwordx4 v[64:67], v60, s[8:9] offset:16
	global_load_dwordx4 v[50:53], v60, s[8:9] offset:32
	;; [unrolled: 1-line block ×14, first 2 shown]
	ds_read2_b64 v[144:147], v111 offset0:100 offset1:200
	ds_read2_b64 v[148:151], v99 offset0:44 offset1:144
	;; [unrolled: 1-line block ×7, first 2 shown]
	ds_read_b64 v[90:91], v111 offset:12000
	ds_read_b64 v[82:83], v112
	s_waitcnt vmcnt(0) lgkmcnt(0)
	s_barrier
	buffer_gl0_inv
	v_mul_f64 v[96:97], v[144:145], v[70:71]
	v_mul_f64 v[108:109], v[146:147], v[66:67]
	;; [unrolled: 1-line block ×28, first 2 shown]
	v_fma_f64 v[16:17], v[16:17], v[68:69], -v[96:97]
	v_mul_f64 v[96:97], v[90:91], v[124:125]
	v_fma_f64 v[18:19], v[18:19], v[64:65], -v[108:109]
	v_fma_f64 v[108:109], v[30:31], v[50:51], -v[164:165]
	v_fma_f64 v[30:31], v[150:151], v[46:47], v[166:167]
	v_fma_f64 v[84:85], v[84:85], v[72:73], v[168:169]
	;; [unrolled: 1-line block ×3, first 2 shown]
	v_fma_f64 v[34:35], v[34:35], v[92:93], -v[172:173]
	v_fma_f64 v[124:125], v[28:29], v[56:57], -v[180:181]
	v_fma_f64 v[150:151], v[158:159], v[118:119], v[182:183]
	v_fma_f64 v[36:37], v[36:37], v[100:101], -v[174:175]
	v_fma_f64 v[158:159], v[162:163], v[114:115], v[178:179]
	v_fma_f64 v[160:161], v[160:161], v[104:105], v[176:177]
	v_fma_f64 v[90:91], v[90:91], v[122:123], v[184:185]
	v_fma_f64 v[42:43], v[42:43], v[140:141], -v[188:189]
	v_fma_f64 v[60:61], v[60:61], v[136:137], v[186:187]
	v_fma_f64 v[68:69], v[144:145], v[68:69], v[70:71]
	;; [unrolled: 1-line block ×4, first 2 shown]
	v_fma_f64 v[46:47], v[32:33], v[46:47], -v[48:49]
	v_fma_f64 v[44:45], v[44:45], v[118:119], -v[120:121]
	;; [unrolled: 1-line block ×3, first 2 shown]
	v_fma_f64 v[48:49], v[154:155], v[100:101], v[102:103]
	v_fma_f64 v[40:41], v[40:41], v[114:115], -v[116:117]
	v_fma_f64 v[20:21], v[20:21], v[72:73], -v[74:75]
	;; [unrolled: 1-line block ×4, first 2 shown]
	v_fma_f64 v[52:53], v[152:153], v[92:93], v[94:95]
	v_fma_f64 v[66:67], v[156:157], v[140:141], v[142:143]
	v_fma_f64 v[70:71], v[80:81], v[122:123], -v[96:97]
	v_add_f64 v[72:73], v[24:25], -v[124:125]
	v_add_f64 v[32:33], v[30:31], -v[150:151]
	;; [unrolled: 1-line block ×8, first 2 shown]
	v_add_nc_u32_e32 v114, 0x400, v111
	v_add_nc_u32_e32 v115, 0xe00, v111
	v_add_f64 v[36:37], v[46:47], -v[44:45]
	v_add_f64 v[44:45], v[64:65], -v[48:49]
	;; [unrolled: 1-line block ×7, first 2 shown]
	v_fma_f64 v[24:25], v[24:25], 2.0, -v[72:73]
	v_add_f64 v[92:93], v[72:73], -v[32:33]
	v_fma_f64 v[18:19], v[18:19], 2.0, -v[74:75]
	v_add_f64 v[94:95], v[74:75], -v[76:77]
	;; [unrolled: 2-line block ×4, first 2 shown]
	v_fma_f64 v[46:47], v[46:47], 2.0, -v[36:37]
	v_fma_f64 v[34:35], v[64:65], 2.0, -v[44:45]
	;; [unrolled: 1-line block ×4, first 2 shown]
	v_add_f64 v[40:41], v[44:45], v[40:41]
	v_fma_f64 v[20:21], v[20:21], 2.0, -v[38:39]
	v_add_f64 v[101:102], v[52:53], v[38:39]
	v_fma_f64 v[50:51], v[50:51], 2.0, -v[48:49]
	v_fma_f64 v[26:27], v[26:27], 2.0, -v[66:67]
	;; [unrolled: 1-line block ×3, first 2 shown]
	v_add_f64 v[60:61], v[48:49], v[66:67]
	v_fma_f64 v[66:67], v[72:73], 2.0, -v[92:93]
	v_fma_f64 v[72:73], v[74:75], 2.0, -v[94:95]
	;; [unrolled: 1-line block ×6, first 2 shown]
	v_add_f64 v[46:47], v[24:25], -v[46:47]
	v_add_f64 v[80:81], v[18:19], -v[22:23]
	;; [unrolled: 1-line block ×3, first 2 shown]
	v_fma_f64 v[44:45], v[44:45], 2.0, -v[40:41]
	v_add_f64 v[20:21], v[16:17], -v[20:21]
	v_fma_f64 v[22:23], v[52:53], 2.0, -v[101:102]
	v_fma_f64 v[52:53], v[94:95], s[16:17], v[92:93]
	v_add_f64 v[26:27], v[70:71], -v[26:27]
	v_add_f64 v[64:65], v[50:51], -v[38:39]
	v_fma_f64 v[38:39], v[99:100], s[16:17], v[96:97]
	v_fma_f64 v[48:49], v[48:49], 2.0, -v[60:61]
	v_fma_f64 v[84:85], v[72:73], s[18:19], v[66:67]
	v_add_f64 v[90:91], v[68:69], -v[78:79]
	v_fma_f64 v[86:87], v[42:43], s[18:19], v[74:75]
	v_fma_f64 v[78:79], v[60:61], s[16:17], v[101:102]
	v_fma_f64 v[24:25], v[24:25], 2.0, -v[46:47]
	v_fma_f64 v[18:19], v[18:19], 2.0, -v[80:81]
	v_add_f64 v[103:104], v[46:47], -v[76:77]
	v_fma_f64 v[16:17], v[16:17], 2.0, -v[20:21]
	v_fma_f64 v[52:53], v[40:41], s[18:19], v[52:53]
	v_fma_f64 v[105:106], v[70:71], 2.0, -v[26:27]
	v_add_f64 v[118:119], v[20:21], -v[64:65]
	v_fma_f64 v[60:61], v[60:61], s[18:19], v[38:39]
	v_fma_f64 v[107:108], v[48:49], s[18:19], v[22:23]
	;; [unrolled: 1-line block ×3, first 2 shown]
	v_fma_f64 v[70:71], v[68:69], 2.0, -v[90:91]
	v_fma_f64 v[38:39], v[48:49], s[18:19], v[86:87]
	v_fma_f64 v[48:49], v[50:51], 2.0, -v[64:65]
	v_add_f64 v[50:51], v[90:91], v[26:27]
	v_fma_f64 v[78:79], v[99:100], s[16:17], v[78:79]
	v_add_f64 v[99:100], v[24:25], -v[18:19]
	v_fma_f64 v[46:47], v[46:47], 2.0, -v[103:104]
	v_fma_f64 v[120:121], v[92:93], 2.0, -v[52:53]
	v_add_f64 v[64:65], v[16:17], -v[105:106]
	v_fma_f64 v[122:123], v[20:21], 2.0, -v[118:119]
	v_fma_f64 v[68:69], v[96:97], 2.0, -v[60:61]
	v_fma_f64 v[84:85], v[42:43], s[16:17], v[107:108]
	v_fma_f64 v[42:43], v[66:67], 2.0, -v[116:117]
	v_fma_f64 v[18:19], v[118:119], s[16:17], v[103:104]
	v_fma_f64 v[26:27], v[60:61], s[6:7], v[52:53]
	v_fma_f64 v[66:67], v[74:75], 2.0, -v[38:39]
	v_add_f64 v[86:87], v[70:71], -v[48:49]
	v_fma_f64 v[48:49], v[90:91], 2.0, -v[50:51]
	v_fma_f64 v[90:91], v[101:102], 2.0, -v[78:79]
	v_fma_f64 v[105:106], v[38:39], s[4:5], v[116:117]
	v_fma_f64 v[74:75], v[24:25], 2.0, -v[99:100]
	v_fma_f64 v[96:97], v[16:17], 2.0, -v[64:65]
	v_fma_f64 v[16:17], v[122:123], s[18:19], v[46:47]
	v_fma_f64 v[101:102], v[68:69], s[14:15], v[120:121]
	v_fma_f64 v[92:93], v[22:23], 2.0, -v[84:85]
	v_fma_f64 v[20:21], v[50:51], s[18:19], v[18:19]
	v_fma_f64 v[22:23], v[78:79], s[14:15], v[26:27]
	v_fma_f64 v[107:108], v[66:67], s[10:11], v[42:43]
	v_add_f64 v[24:25], v[99:100], -v[86:87]
	v_fma_f64 v[26:27], v[84:85], s[10:11], v[105:106]
	v_add_f64 v[124:125], v[74:75], -v[96:97]
	v_fma_f64 v[16:17], v[48:49], s[18:19], v[16:17]
	v_fma_f64 v[18:19], v[90:91], s[10:11], v[101:102]
	v_mov_b32_e32 v96, 0xa0
	v_fma_f64 v[52:53], v[52:53], 2.0, -v[22:23]
	v_fma_f64 v[136:137], v[92:93], s[14:15], v[107:108]
	v_mul_u32_u24_sdwa v55, v55, v96 dst_sel:DWORD dst_unused:UNUSED_PAD src0_sel:WORD_0 src1_sel:DWORD
	v_fma_f64 v[138:139], v[99:100], 2.0, -v[24:25]
	v_mul_f64 v[106:107], v[40:41], s[16:17]
	v_fma_f64 v[140:141], v[116:117], 2.0, -v[26:27]
	v_add_nc_u32_e32 v116, 0x2200, v111
	v_or_b32_sdwa v96, v55, v54 dst_sel:DWORD dst_unused:UNUSED_PAD src0_sel:DWORD src1_sel:BYTE_0
	v_fma_f64 v[54:55], v[103:104], 2.0, -v[20:21]
	v_mul_f64 v[102:103], v[72:73], s[16:17]
	v_mul_f64 v[108:109], v[44:45], s[16:17]
	;; [unrolled: 1-line block ×3, first 2 shown]
	v_lshlrev_b32_e32 v96, 3, v96
	v_mul_f64 v[104:105], v[94:95], s[16:17]
	v_mul_f64 v[94:95], v[122:123], s[16:17]
	v_fma_f64 v[74:75], v[74:75], 2.0, -v[124:125]
	v_fma_f64 v[46:47], v[46:47], 2.0, -v[16:17]
	;; [unrolled: 1-line block ×3, first 2 shown]
	v_add3_u32 v117, 0, v96, v98
	v_mul_f64 v[98:99], v[48:49], s[16:17]
	v_mul_f64 v[96:97], v[118:119], s[16:17]
	v_fma_f64 v[42:43], v[42:43], 2.0, -v[136:137]
	ds_write2_b64 v117, v[20:21], v[22:23] offset0:140 offset1:150
	ds_write2_b64 v117, v[54:55], v[52:53] offset0:60 offset1:70
	;; [unrolled: 1-line block ×7, first 2 shown]
	ds_write2_b64 v117, v[74:75], v[42:43] offset1:10
	s_waitcnt lgkmcnt(0)
	s_barrier
	buffer_gl0_inv
	ds_read2_b64 v[40:43], v114 offset0:32 offset1:192
	ds_read2_b64 v[48:51], v115 offset0:32 offset1:192
	;; [unrolled: 1-line block ×4, first 2 shown]
	ds_read_b64 v[72:73], v112
	ds_read_b64 v[74:75], v111 offset:11520
	s_and_saveexec_b32 s1, s0
	s_cbranch_execz .LBB0_19
; %bb.18:
	v_add_nc_u32_e32 v0, 0x200, v111
	v_add_nc_u32_e32 v1, 0xc00, v111
	;; [unrolled: 1-line block ×5, first 2 shown]
	ds_read2_b64 v[16:19], v0 offset0:36 offset1:196
	ds_read2_b64 v[24:27], v1 offset0:36 offset1:196
	;; [unrolled: 1-line block ×5, first 2 shown]
.LBB0_19:
	s_or_b32 exec_lo, exec_lo, s1
	v_mul_f64 v[28:29], v[28:29], v[58:59]
	v_fma_f64 v[30:31], v[30:31], 2.0, -v[32:33]
	v_fma_f64 v[34:35], v[34:35], 2.0, -v[76:77]
	;; [unrolled: 1-line block ×3, first 2 shown]
	s_waitcnt lgkmcnt(0)
	s_barrier
	buffer_gl0_inv
	v_fma_f64 v[28:29], v[62:63], v[56:57], v[28:29]
	v_add_f64 v[28:29], v[82:83], -v[28:29]
	v_add_f64 v[36:37], v[28:29], v[36:37]
	v_fma_f64 v[32:33], v[82:83], 2.0, -v[28:29]
	v_fma_f64 v[28:29], v[28:29], 2.0, -v[36:37]
	v_add_f64 v[30:31], v[32:33], -v[30:31]
	v_add_f64 v[56:57], v[36:37], v[106:107]
	v_add_f64 v[58:59], v[28:29], -v[108:109]
	v_add_f64 v[62:63], v[30:31], v[80:81]
	v_add_f64 v[56:57], v[104:105], v[56:57]
	v_fma_f64 v[32:33], v[32:33], 2.0, -v[30:31]
	v_add_f64 v[58:59], v[102:103], v[58:59]
	v_fma_f64 v[76:77], v[30:31], 2.0, -v[62:63]
	v_fma_f64 v[80:81], v[36:37], 2.0, -v[56:57]
	v_add_f64 v[82:83], v[32:33], -v[34:35]
	v_fma_f64 v[30:31], v[78:79], s[6:7], v[56:57]
	v_fma_f64 v[102:103], v[28:29], 2.0, -v[58:59]
	v_add_f64 v[28:29], v[62:63], v[100:101]
	v_add_f64 v[78:79], v[76:77], -v[98:99]
	v_fma_f64 v[86:87], v[90:91], s[14:15], v[80:81]
	v_fma_f64 v[84:85], v[84:85], s[4:5], v[58:59]
	v_fma_f64 v[90:91], v[32:33], 2.0, -v[82:83]
	v_fma_f64 v[34:35], v[60:61], s[4:5], v[30:31]
	v_add_f64 v[36:37], v[82:83], v[64:65]
	v_fma_f64 v[92:93], v[92:93], s[10:11], v[102:103]
	v_add_f64 v[32:33], v[96:97], v[28:29]
	v_add_f64 v[28:29], v[94:95], v[78:79]
	v_fma_f64 v[30:31], v[68:69], s[6:7], v[86:87]
	v_fma_f64 v[38:39], v[38:39], s[6:7], v[84:85]
	v_add_f64 v[60:61], v[90:91], -v[70:71]
	v_fma_f64 v[56:57], v[56:57], 2.0, -v[34:35]
	v_fma_f64 v[64:65], v[66:67], s[4:5], v[92:93]
	v_fma_f64 v[62:63], v[62:63], 2.0, -v[32:33]
	v_fma_f64 v[68:69], v[76:77], 2.0, -v[28:29]
	;; [unrolled: 1-line block ×6, first 2 shown]
	v_add_nc_u32_e32 v80, 0x1800, v111
	v_fma_f64 v[78:79], v[102:103], 2.0, -v[64:65]
	ds_write2_b64 v117, v[32:33], v[34:35] offset0:140 offset1:150
	ds_write2_b64 v117, v[62:63], v[56:57] offset0:60 offset1:70
	;; [unrolled: 1-line block ×7, first 2 shown]
	ds_write2_b64 v117, v[76:77], v[78:79] offset1:10
	s_waitcnt lgkmcnt(0)
	s_barrier
	buffer_gl0_inv
	ds_read2_b64 v[56:59], v114 offset0:32 offset1:192
	ds_read2_b64 v[64:67], v115 offset0:32 offset1:192
	;; [unrolled: 1-line block ×4, first 2 shown]
	ds_read_b64 v[76:77], v112
	ds_read_b64 v[78:79], v111 offset:11520
	s_and_saveexec_b32 s1, s0
	s_cbranch_execz .LBB0_21
; %bb.20:
	v_add_nc_u32_e32 v8, 0x200, v111
	v_add_nc_u32_e32 v9, 0xc00, v111
	;; [unrolled: 1-line block ×5, first 2 shown]
	ds_read2_b64 v[28:31], v8 offset0:36 offset1:196
	ds_read2_b64 v[36:39], v9 offset0:36 offset1:196
	;; [unrolled: 1-line block ×5, first 2 shown]
.LBB0_21:
	s_or_b32 exec_lo, exec_lo, s1
	s_and_saveexec_b32 s1, vcc_lo
	s_cbranch_execz .LBB0_24
; %bb.22:
	v_mul_u32_u24_e32 v80, 9, v126
	v_mad_u64_u32 v[123:124], null, s2, v126, 0
	v_mad_u64_u32 v[136:137], null, s2, v128, 0
	v_lshlrev_b32_e32 v80, 4, v80
	v_mad_u64_u32 v[138:139], null, s2, v129, 0
	v_mad_u64_u32 v[140:141], null, s2, v130, 0
	v_add_co_u32 v82, s1, s8, v80
	v_add_co_ci_u32_e64 v83, null, s9, 0, s1
	v_mad_u64_u32 v[142:143], null, s2, v131, 0
	v_add_co_u32 v80, vcc_lo, 0x960, v82
	v_add_co_ci_u32_e32 v81, vcc_lo, 0, v83, vcc_lo
	v_add_co_u32 v119, vcc_lo, 0x800, v82
	v_add_co_ci_u32_e32 v120, vcc_lo, 0, v83, vcc_lo
	;; [unrolled: 2-line block ×3, first 2 shown]
	s_clause 0x8
	global_load_dwordx4 v[83:86], v[80:81], off offset:32
	global_load_dwordx4 v[90:93], v[119:120], off offset:416
	;; [unrolled: 1-line block ×9, first 2 shown]
	v_mad_u64_u32 v[144:145], null, s2, v132, 0
	v_add_co_u32 v81, vcc_lo, s12, v88
	v_mad_u64_u32 v[87:88], null, s2, v127, 0
	v_mad_u64_u32 v[146:147], null, s2, v133, 0
	;; [unrolled: 1-line block ×4, first 2 shown]
	v_add_co_ci_u32_e32 v82, vcc_lo, s13, v89, vcc_lo
	v_mov_b32_e32 v89, v124
	v_mov_b32_e32 v124, v137
	v_mov_b32_e32 v125, v139
	v_mov_b32_e32 v137, v141
	v_mov_b32_e32 v139, v143
	v_mov_b32_e32 v141, v145
	v_mov_b32_e32 v143, v147
	v_mov_b32_e32 v147, v151
	v_mov_b32_e32 v145, v149
	s_mov_b32 s6, 0x134454ff
	s_mov_b32 s7, 0x3fee6f0e
	;; [unrolled: 1-line block ×12, first 2 shown]
	v_mov_b32_e32 v80, 0
	s_waitcnt vmcnt(7)
	v_mad_u64_u32 v[151:152], null, s3, v126, v[89:90]
	v_mad_u64_u32 v[88:89], null, s3, v127, v[88:89]
	;; [unrolled: 1-line block ×10, first 2 shown]
	v_mov_b32_e32 v124, v151
	v_mov_b32_e32 v137, v127
	;; [unrolled: 1-line block ×9, first 2 shown]
	s_waitcnt lgkmcnt(4)
	v_mul_f64 v[127:128], v[64:65], v[85:86]
	s_waitcnt lgkmcnt(3)
	v_mul_f64 v[129:130], v[60:61], v[92:93]
	s_waitcnt vmcnt(6) lgkmcnt(0)
	v_mul_f64 v[131:132], v[78:79], v[96:97]
	s_waitcnt vmcnt(5)
	v_mul_f64 v[133:134], v[68:69], v[100:101]
	v_mul_f64 v[92:93], v[52:53], v[92:93]
	v_mul_f64 v[100:101], v[44:45], v[100:101]
	v_mul_f64 v[85:86], v[48:49], v[85:86]
	v_mul_f64 v[96:97], v[74:75], v[96:97]
	s_waitcnt vmcnt(4)
	v_mul_f64 v[152:153], v[42:43], v[104:105]
	v_mul_f64 v[104:105], v[58:59], v[104:105]
	s_waitcnt vmcnt(0)
	v_mul_f64 v[160:161], v[56:57], v[121:122]
	v_mul_f64 v[121:122], v[40:41], v[121:122]
	;; [unrolled: 1-line block ×8, first 2 shown]
	v_lshlrev_b64 v[123:124], 4, v[123:124]
	v_lshlrev_b64 v[87:88], 4, v[87:88]
	;; [unrolled: 1-line block ×4, first 2 shown]
	v_fma_f64 v[48:49], v[48:49], v[83:84], -v[127:128]
	v_fma_f64 v[52:53], v[52:53], v[90:91], -v[129:130]
	;; [unrolled: 1-line block ×4, first 2 shown]
	v_fma_f64 v[60:61], v[60:61], v[90:91], v[92:93]
	v_fma_f64 v[68:69], v[68:69], v[98:99], v[100:101]
	;; [unrolled: 1-line block ×5, first 2 shown]
	v_fma_f64 v[42:43], v[42:43], v[102:103], -v[104:105]
	v_fma_f64 v[40:41], v[40:41], v[119:120], -v[160:161]
	v_fma_f64 v[56:57], v[56:57], v[119:120], v[121:122]
	v_add_co_u32 v93, vcc_lo, v81, v123
	v_add_co_ci_u32_e32 v94, vcc_lo, v82, v124, vcc_lo
	v_fma_f64 v[66:67], v[66:67], v[106:107], v[154:155]
	v_fma_f64 v[70:71], v[70:71], v[111:112], v[156:157]
	;; [unrolled: 1-line block ×3, first 2 shown]
	v_fma_f64 v[50:51], v[50:51], v[106:107], -v[108:109]
	v_fma_f64 v[54:55], v[54:55], v[115:116], -v[117:118]
	;; [unrolled: 1-line block ×3, first 2 shown]
	v_add_co_u32 v87, vcc_lo, v81, v87
	v_add_f64 v[99:100], v[48:49], v[74:75]
	v_add_f64 v[95:96], v[52:53], v[44:45]
	v_add_f64 v[121:122], v[52:53], -v[44:45]
	v_add_f64 v[97:98], v[60:61], v[68:69]
	v_add_f64 v[119:120], v[60:61], -v[68:69]
	;; [unrolled: 2-line block ×3, first 2 shown]
	v_add_f64 v[123:124], v[48:49], -v[74:75]
	v_add_co_ci_u32_e32 v88, vcc_lo, v82, v88, vcc_lo
	v_add_co_u32 v103, vcc_lo, v81, v135
	v_lshlrev_b64 v[83:84], 4, v[144:145]
	v_lshlrev_b64 v[85:86], 4, v[146:147]
	;; [unrolled: 1-line block ×4, first 2 shown]
	v_add_co_ci_u32_e32 v104, vcc_lo, v82, v136, vcc_lo
	v_add_f64 v[115:116], v[66:67], v[62:63]
	v_add_f64 v[129:130], v[48:49], -v[52:53]
	v_add_f64 v[131:132], v[74:75], -v[44:45]
	;; [unrolled: 1-line block ×3, first 2 shown]
	v_fma_f64 v[99:100], v[99:100], -0.5, v[40:41]
	v_fma_f64 v[95:96], v[95:96], -0.5, v[40:41]
	v_add_f64 v[135:136], v[78:79], -v[68:69]
	v_fma_f64 v[97:98], v[97:98], -0.5, v[56:57]
	v_add_f64 v[145:146], v[58:59], v[70:71]
	v_fma_f64 v[101:102], v[101:102], -0.5, v[56:57]
	v_add_f64 v[147:148], v[52:53], -v[48:49]
	v_add_f64 v[149:150], v[44:45], -v[74:75]
	;; [unrolled: 1-line block ×4, first 2 shown]
	v_add_f64 v[56:57], v[64:65], v[56:57]
	v_add_f64 v[64:65], v[50:51], v[54:55]
	v_add_f64 v[157:158], v[42:43], v[46:47]
	v_add_co_u32 v105, vcc_lo, v81, v137
	v_add_f64 v[127:128], v[42:43], -v[46:47]
	v_add_f64 v[155:156], v[76:77], v[58:59]
	v_add_f64 v[159:160], v[42:43], -v[50:51]
	v_add_f64 v[173:174], v[50:51], -v[42:43]
	v_add_f64 v[42:43], v[72:73], v[42:43]
	v_add_f64 v[40:41], v[48:49], v[40:41]
	v_add_co_ci_u32_e32 v106, vcc_lo, v82, v138, vcc_lo
	v_fma_f64 v[167:168], v[119:120], s[14:15], v[99:100]
	v_fma_f64 v[169:170], v[117:118], s[6:7], v[95:96]
	;; [unrolled: 1-line block ×8, first 2 shown]
	v_add_f64 v[107:108], v[58:59], -v[66:67]
	v_add_f64 v[113:114], v[50:51], -v[54:55]
	;; [unrolled: 1-line block ×5, first 2 shown]
	v_fma_f64 v[48:49], v[115:116], -0.5, v[76:77]
	v_fma_f64 v[76:77], v[145:146], -0.5, v[76:77]
	v_add_f64 v[115:116], v[129:130], v[131:132]
	v_add_f64 v[129:130], v[133:134], v[135:136]
	v_fma_f64 v[64:65], v[64:65], -0.5, v[72:73]
	v_fma_f64 v[72:73], v[157:158], -0.5, v[72:73]
	v_add_f64 v[131:132], v[147:148], v[149:150]
	v_add_f64 v[133:134], v[151:152], v[153:154]
	;; [unrolled: 1-line block ×3, first 2 shown]
	v_fma_f64 v[147:148], v[117:118], s[10:11], v[167:168]
	v_fma_f64 v[149:150], v[119:120], s[10:11], v[169:170]
	;; [unrolled: 1-line block ×8, first 2 shown]
	v_add_f64 v[56:57], v[60:61], v[56:57]
	v_add_f64 v[42:43], v[42:43], v[50:51]
	;; [unrolled: 1-line block ×3, first 2 shown]
	v_lshlrev_b64 v[139:140], 4, v[140:141]
	v_lshlrev_b64 v[141:142], 4, v[142:143]
	v_add_f64 v[111:112], v[70:71], -v[62:63]
	v_add_f64 v[143:144], v[62:63], -v[70:71]
	;; [unrolled: 1-line block ×4, first 2 shown]
	v_fma_f64 v[50:51], v[127:128], s[6:7], v[48:49]
	v_fma_f64 v[52:53], v[113:114], s[14:15], v[76:77]
	;; [unrolled: 1-line block ×16, first 2 shown]
	v_add_f64 v[62:63], v[66:67], v[62:63]
	v_add_f64 v[56:57], v[68:69], v[56:57]
	;; [unrolled: 1-line block ×8, first 2 shown]
	v_fma_f64 v[44:45], v[113:114], s[10:11], v[50:51]
	v_fma_f64 v[50:51], v[127:128], s[10:11], v[52:53]
	;; [unrolled: 1-line block ×8, first 2 shown]
	v_mul_f64 v[66:67], v[119:120], s[18:19]
	v_mul_f64 v[68:69], v[121:122], s[4:5]
	;; [unrolled: 1-line block ×8, first 2 shown]
	v_add_f64 v[62:63], v[70:71], v[62:63]
	v_add_f64 v[56:57], v[78:79], v[56:57]
	;; [unrolled: 1-line block ×4, first 2 shown]
	v_add_co_u32 v133, vcc_lo, v81, v139
	v_fma_f64 v[78:79], v[107:108], s[4:5], v[44:45]
	v_fma_f64 v[137:138], v[111:112], s[4:5], v[50:51]
	;; [unrolled: 1-line block ×6, first 2 shown]
	v_add_co_ci_u32_e32 v134, vcc_lo, v82, v140, vcc_lo
	v_fma_f64 v[60:61], v[95:96], s[16:17], -v[66:67]
	v_fma_f64 v[66:67], v[99:100], s[14:15], -v[68:69]
	v_fma_f64 v[68:69], v[101:102], s[4:5], v[72:73]
	v_fma_f64 v[99:100], v[115:116], s[4:5], v[64:65]
	;; [unrolled: 1-line block ×5, first 2 shown]
	v_fma_f64 v[97:98], v[119:120], s[10:11], -v[113:114]
	v_fma_f64 v[113:114], v[123:124], s[4:5], v[127:128]
	v_fma_f64 v[115:116], v[121:122], s[6:7], -v[117:118]
	v_add_f64 v[46:47], v[62:63], v[56:57]
	v_add_f64 v[44:45], v[70:71], v[74:75]
	v_add_f64 v[40:41], v[70:71], -v[74:75]
	v_add_f64 v[42:43], v[62:63], -v[56:57]
	v_add_co_u32 v117, vcc_lo, v81, v141
	v_add_co_ci_u32_e32 v118, vcc_lo, v82, v142, vcc_lo
	v_add_co_u32 v83, vcc_lo, v81, v83
	v_add_co_ci_u32_e32 v84, vcc_lo, v82, v84, vcc_lo
	v_add_f64 v[50:51], v[78:79], -v[60:61]
	v_add_f64 v[54:55], v[137:138], -v[66:67]
	;; [unrolled: 1-line block ×3, first 2 shown]
	v_add_f64 v[70:71], v[52:53], v[68:69]
	v_add_f64 v[74:75], v[48:49], v[76:77]
	;; [unrolled: 1-line block ×8, first 2 shown]
	v_add_f64 v[78:79], v[48:49], -v[76:77]
	v_add_f64 v[76:77], v[99:100], -v[101:102]
	;; [unrolled: 1-line block ×5, first 2 shown]
	v_add_co_u32 v85, vcc_lo, v81, v85
	v_add_co_ci_u32_e32 v86, vcc_lo, v82, v86, vcc_lo
	v_add_co_u32 v89, vcc_lo, v81, v89
	v_add_co_ci_u32_e32 v90, vcc_lo, v82, v90, vcc_lo
	;; [unrolled: 2-line block ×3, first 2 shown]
	global_store_dwordx4 v[93:94], v[44:47], off
	global_store_dwordx4 v[87:88], v[72:75], off
	;; [unrolled: 1-line block ×10, first 2 shown]
	s_and_b32 exec_lo, exec_lo, s0
	s_cbranch_execz .LBB0_24
; %bb.23:
	v_subrev_nc_u32_e32 v40, 60, v126
	v_add_nc_u32_e32 v101, 0x104, v126
	v_add_nc_u32_e32 v102, 0x1a4, v126
	;; [unrolled: 1-line block ×4, first 2 shown]
	v_cndmask_b32_e64 v40, v40, v110, s0
	v_add_nc_u32_e32 v105, 0x384, v126
	v_mad_u64_u32 v[76:77], null, s2, v110, 0
	v_mad_u64_u32 v[83:84], null, s2, v102, 0
	v_mul_i32_i24_e32 v79, 9, v40
	v_mad_u64_u32 v[85:86], null, s2, v103, 0
	v_mad_u64_u32 v[87:88], null, s2, v104, 0
	v_lshlrev_b64 v[40:41], 4, v[79:80]
	v_mad_u64_u32 v[78:79], null, s2, v101, 0
	v_add_nc_u32_e32 v106, 0x424, v126
	v_mad_u64_u32 v[89:90], null, s2, v105, 0
	v_add_co_u32 v40, vcc_lo, s8, v40
	v_add_co_ci_u32_e32 v41, vcc_lo, s9, v41, vcc_lo
	v_add_nc_u32_e32 v107, 0x4c4, v126
	v_add_co_u32 v64, vcc_lo, 0x960, v40
	v_add_co_ci_u32_e32 v65, vcc_lo, 0, v41, vcc_lo
	v_add_co_u32 v56, vcc_lo, 0x800, v40
	v_add_co_ci_u32_e32 v57, vcc_lo, 0, v41, vcc_lo
	;; [unrolled: 2-line block ×3, first 2 shown]
	s_clause 0x8
	global_load_dwordx4 v[40:43], v[64:65], off offset:32
	global_load_dwordx4 v[44:47], v[56:57], off offset:416
	;; [unrolled: 1-line block ×9, first 2 shown]
	v_add_nc_u32_e32 v108, 0x564, v126
	v_add_nc_u32_e32 v109, 0x604, v126
	v_mad_u64_u32 v[99:100], null, s3, v110, v[77:78]
	v_mov_b32_e32 v77, v79
	v_mad_u64_u32 v[91:92], null, s2, v106, 0
	v_mov_b32_e32 v79, v84
	v_mov_b32_e32 v80, v86
	v_mad_u64_u32 v[93:94], null, s2, v107, 0
	v_mad_u64_u32 v[95:96], null, s2, v108, 0
	;; [unrolled: 1-line block ×3, first 2 shown]
	v_mov_b32_e32 v84, v88
	v_mov_b32_e32 v86, v90
	v_mad_u64_u32 v[100:101], null, s3, v101, v[77:78]
	v_mad_u64_u32 v[101:102], null, s3, v102, v[79:80]
	;; [unrolled: 1-line block ×4, first 2 shown]
	v_mov_b32_e32 v88, v92
	v_mad_u64_u32 v[104:105], null, s3, v105, v[86:87]
	v_mov_b32_e32 v90, v94
	v_mov_b32_e32 v92, v96
	;; [unrolled: 1-line block ×3, first 2 shown]
	v_mad_u64_u32 v[105:106], null, s3, v106, v[88:89]
	v_mad_u64_u32 v[106:107], null, s3, v107, v[90:91]
	v_mov_b32_e32 v77, v99
	v_mad_u64_u32 v[98:99], null, s3, v108, v[92:93]
	v_mad_u64_u32 v[107:108], null, s3, v109, v[94:95]
	v_mov_b32_e32 v79, v100
	v_mov_b32_e32 v84, v101
	;; [unrolled: 1-line block ×7, first 2 shown]
	v_lshlrev_b64 v[76:77], 4, v[76:77]
	v_lshlrev_b64 v[78:79], 4, v[78:79]
	v_mov_b32_e32 v96, v98
	v_mov_b32_e32 v98, v107
	s_waitcnt vmcnt(8)
	v_mul_f64 v[99:100], v[38:39], v[42:43]
	s_waitcnt vmcnt(7)
	v_mul_f64 v[101:102], v[34:35], v[46:47]
	v_mul_f64 v[46:47], v[22:23], v[46:47]
	s_waitcnt vmcnt(6)
	v_mul_f64 v[103:104], v[10:11], v[50:51]
	s_waitcnt vmcnt(5)
	v_mul_f64 v[108:109], v[14:15], v[54:55]
	v_mul_f64 v[50:51], v[6:7], v[50:51]
	;; [unrolled: 1-line block ×4, first 2 shown]
	s_waitcnt vmcnt(4)
	v_mul_f64 v[105:106], v[30:31], v[58:59]
	v_mul_f64 v[58:59], v[18:19], v[58:59]
	s_waitcnt vmcnt(3)
	v_mul_f64 v[110:111], v[36:37], v[62:63]
	v_mul_f64 v[62:63], v[24:25], v[62:63]
	;; [unrolled: 3-line block ×4, first 2 shown]
	s_waitcnt vmcnt(0)
	v_mul_f64 v[116:117], v[0:1], v[74:75]
	v_fma_f64 v[26:27], v[26:27], v[40:41], -v[99:100]
	v_fma_f64 v[22:23], v[22:23], v[44:45], -v[101:102]
	v_fma_f64 v[34:35], v[34:35], v[44:45], v[46:47]
	v_fma_f64 v[6:7], v[6:7], v[48:49], -v[103:104]
	v_fma_f64 v[2:3], v[2:3], v[52:53], -v[108:109]
	v_fma_f64 v[10:11], v[10:11], v[48:49], v[50:51]
	v_fma_f64 v[38:39], v[38:39], v[40:41], v[42:43]
	;; [unrolled: 1-line block ×3, first 2 shown]
	v_mul_f64 v[48:49], v[12:13], v[74:75]
	v_fma_f64 v[18:19], v[18:19], v[56:57], -v[105:106]
	v_fma_f64 v[24:25], v[24:25], v[60:61], -v[110:111]
	v_fma_f64 v[36:37], v[36:37], v[60:61], v[62:63]
	v_fma_f64 v[30:31], v[30:31], v[56:57], v[58:59]
	v_fma_f64 v[20:21], v[20:21], v[64:65], -v[112:113]
	v_fma_f64 v[32:33], v[32:33], v[64:65], v[66:67]
	v_add_co_u32 v64, vcc_lo, v81, v76
	v_add_co_ci_u32_e32 v65, vcc_lo, v82, v77, vcc_lo
	v_lshlrev_b64 v[40:41], 4, v[83:84]
	v_fma_f64 v[4:5], v[4:5], v[68:69], -v[114:115]
	v_fma_f64 v[12:13], v[12:13], v[72:73], v[116:117]
	v_fma_f64 v[8:9], v[8:9], v[68:69], v[70:71]
	v_lshlrev_b64 v[42:43], 4, v[85:86]
	v_lshlrev_b64 v[50:51], 4, v[91:92]
	v_add_f64 v[56:57], v[22:23], v[6:7]
	v_add_f64 v[58:59], v[26:27], v[2:3]
	;; [unrolled: 1-line block ×3, first 2 shown]
	v_add_f64 v[83:84], v[26:27], -v[2:3]
	v_add_f64 v[62:63], v[38:39], v[14:15]
	v_fma_f64 v[0:1], v[0:1], v[72:73], -v[48:49]
	v_add_co_u32 v48, vcc_lo, v81, v78
	v_add_co_ci_u32_e32 v49, vcc_lo, v82, v79, vcc_lo
	v_add_f64 v[76:77], v[38:39], -v[14:15]
	v_add_f64 v[78:79], v[34:35], -v[10:11]
	;; [unrolled: 1-line block ×7, first 2 shown]
	v_add_f64 v[68:69], v[20:21], v[4:5]
	v_add_f64 v[103:104], v[36:37], v[12:13]
	;; [unrolled: 1-line block ×3, first 2 shown]
	v_add_f64 v[113:114], v[38:39], -v[34:35]
	v_add_f64 v[115:116], v[14:15], -v[10:11]
	v_fma_f64 v[56:57], v[56:57], -0.5, v[18:19]
	v_fma_f64 v[58:59], v[58:59], -0.5, v[18:19]
	;; [unrolled: 1-line block ×3, first 2 shown]
	v_add_f64 v[117:118], v[34:35], -v[38:39]
	v_fma_f64 v[62:63], v[62:63], -0.5, v[30:31]
	v_add_f64 v[91:92], v[24:25], v[0:1]
	v_add_f64 v[119:120], v[10:11], -v[14:15]
	v_lshlrev_b64 v[74:75], 4, v[97:98]
	v_add_f64 v[66:67], v[16:17], v[24:25]
	v_add_f64 v[97:98], v[28:29], v[36:37]
	;; [unrolled: 1-line block ×4, first 2 shown]
	v_lshlrev_b64 v[44:45], 4, v[87:88]
	v_lshlrev_b64 v[46:47], 4, v[89:90]
	v_lshlrev_b64 v[52:53], 4, v[93:94]
	v_add_f64 v[70:71], v[36:37], -v[12:13]
	v_add_f64 v[87:88], v[24:25], -v[20:21]
	;; [unrolled: 1-line block ×6, first 2 shown]
	v_fma_f64 v[30:31], v[68:69], -0.5, v[16:17]
	v_fma_f64 v[127:128], v[76:77], s[14:15], v[56:57]
	v_fma_f64 v[125:126], v[78:79], s[6:7], v[58:59]
	;; [unrolled: 1-line block ×8, first 2 shown]
	v_fma_f64 v[16:17], v[91:92], -0.5, v[16:17]
	v_fma_f64 v[38:39], v[99:100], -0.5, v[28:29]
	;; [unrolled: 1-line block ×3, first 2 shown]
	v_add_f64 v[68:69], v[105:106], v[107:108]
	v_add_f64 v[91:92], v[109:110], v[111:112]
	;; [unrolled: 1-line block ×3, first 2 shown]
	v_add_f64 v[72:73], v[32:33], -v[8:9]
	v_add_f64 v[103:104], v[117:118], v[119:120]
	v_lshlrev_b64 v[54:55], 4, v[95:96]
	v_add_f64 v[95:96], v[4:5], -v[0:1]
	v_add_f64 v[129:130], v[36:37], -v[32:33]
	;; [unrolled: 1-line block ×3, first 2 shown]
	v_add_f64 v[20:21], v[66:67], v[20:21]
	v_add_f64 v[32:33], v[97:98], v[32:33]
	v_fma_f64 v[111:112], v[78:79], s[16:17], v[127:128]
	v_fma_f64 v[109:110], v[76:77], s[16:17], v[125:126]
	;; [unrolled: 1-line block ×8, first 2 shown]
	v_add_f64 v[18:19], v[18:19], v[22:23]
	v_add_f64 v[22:23], v[26:27], v[34:35]
	v_add_f64 v[131:132], v[12:13], -v[8:9]
	v_add_f64 v[133:134], v[8:9], -v[12:13]
	v_add_f64 v[66:67], v[87:88], v[89:90]
	v_fma_f64 v[26:27], v[70:71], s[6:7], v[30:31]
	v_fma_f64 v[30:31], v[70:71], s[14:15], v[30:31]
	;; [unrolled: 1-line block ×8, first 2 shown]
	v_add_f64 v[76:77], v[93:94], v[95:96]
	v_fma_f64 v[93:94], v[68:69], s[4:5], v[111:112]
	v_fma_f64 v[89:90], v[91:92], s[4:5], v[109:110]
	;; [unrolled: 1-line block ×8, first 2 shown]
	v_add_f64 v[4:5], v[20:21], v[4:5]
	v_add_f64 v[8:9], v[32:33], v[8:9]
	;; [unrolled: 1-line block ×6, first 2 shown]
	v_fma_f64 v[18:19], v[72:73], s[10:11], v[26:27]
	v_fma_f64 v[20:21], v[72:73], s[16:17], v[30:31]
	;; [unrolled: 1-line block ×8, first 2 shown]
	v_mul_f64 v[70:71], v[93:94], s[18:19]
	v_mul_f64 v[38:39], v[89:90], s[4:5]
	;; [unrolled: 1-line block ×8, first 2 shown]
	v_add_f64 v[4:5], v[4:5], v[0:1]
	v_add_f64 v[8:9], v[8:9], v[12:13]
	;; [unrolled: 1-line block ×4, first 2 shown]
	v_add_co_u32 v40, vcc_lo, v81, v40
	v_fma_f64 v[95:96], v[66:67], s[4:5], v[18:19]
	v_fma_f64 v[66:67], v[66:67], s[4:5], v[20:21]
	;; [unrolled: 1-line block ×8, first 2 shown]
	v_add_co_ci_u32_e32 v41, vcc_lo, v82, v41, vcc_lo
	v_fma_f64 v[24:25], v[56:57], s[18:19], v[28:29]
	v_fma_f64 v[32:33], v[62:63], s[6:7], -v[38:39]
	v_fma_f64 v[38:39], v[85:86], s[18:19], v[72:73]
	v_fma_f64 v[28:29], v[58:59], s[4:5], v[34:35]
	;; [unrolled: 1-line block ×3, first 2 shown]
	v_fma_f64 v[58:59], v[89:90], s[14:15], -v[83:84]
	v_fma_f64 v[34:35], v[60:61], s[10:11], -v[70:71]
	;; [unrolled: 1-line block ×3, first 2 shown]
	v_add_f64 v[0:1], v[4:5], v[6:7]
	v_add_f64 v[2:3], v[8:9], v[10:11]
	v_add_f64 v[4:5], v[4:5], -v[6:7]
	v_add_f64 v[6:7], v[8:9], -v[10:11]
	v_add_co_u32 v42, vcc_lo, v81, v42
	v_add_co_ci_u32_e32 v43, vcc_lo, v82, v43, vcc_lo
	v_add_co_u32 v44, vcc_lo, v81, v44
	v_add_co_ci_u32_e32 v45, vcc_lo, v82, v45, vcc_lo
	v_add_co_u32 v46, vcc_lo, v81, v46
	v_add_f64 v[8:9], v[95:96], v[24:25]
	v_add_f64 v[16:17], v[76:77], v[32:33]
	;; [unrolled: 1-line block ×8, first 2 shown]
	v_add_f64 v[24:25], v[95:96], -v[24:25]
	v_add_f64 v[26:27], v[26:27], -v[38:39]
	;; [unrolled: 1-line block ×8, first 2 shown]
	v_add_co_ci_u32_e32 v47, vcc_lo, v82, v47, vcc_lo
	v_add_co_u32 v50, vcc_lo, v81, v50
	v_add_co_ci_u32_e32 v51, vcc_lo, v82, v51, vcc_lo
	v_add_co_u32 v52, vcc_lo, v81, v52
	;; [unrolled: 2-line block ×4, first 2 shown]
	v_add_co_ci_u32_e32 v57, vcc_lo, v82, v75, vcc_lo
	global_store_dwordx4 v[64:65], v[0:3], off
	global_store_dwordx4 v[48:49], v[8:11], off
	;; [unrolled: 1-line block ×10, first 2 shown]
.LBB0_24:
	s_endpgm
	.section	.rodata,"a",@progbits
	.p2align	6, 0x0
	.amdhsa_kernel fft_rtc_fwd_len1600_factors_10_16_10_wgs_200_tpt_100_halfLds_dp_ip_CI_sbrr_dirReg
		.amdhsa_group_segment_fixed_size 0
		.amdhsa_private_segment_fixed_size 0
		.amdhsa_kernarg_size 88
		.amdhsa_user_sgpr_count 6
		.amdhsa_user_sgpr_private_segment_buffer 1
		.amdhsa_user_sgpr_dispatch_ptr 0
		.amdhsa_user_sgpr_queue_ptr 0
		.amdhsa_user_sgpr_kernarg_segment_ptr 1
		.amdhsa_user_sgpr_dispatch_id 0
		.amdhsa_user_sgpr_flat_scratch_init 0
		.amdhsa_user_sgpr_private_segment_size 0
		.amdhsa_wavefront_size32 1
		.amdhsa_uses_dynamic_stack 0
		.amdhsa_system_sgpr_private_segment_wavefront_offset 0
		.amdhsa_system_sgpr_workgroup_id_x 1
		.amdhsa_system_sgpr_workgroup_id_y 0
		.amdhsa_system_sgpr_workgroup_id_z 0
		.amdhsa_system_sgpr_workgroup_info 0
		.amdhsa_system_vgpr_workitem_id 0
		.amdhsa_next_free_vgpr 190
		.amdhsa_next_free_sgpr 23
		.amdhsa_reserve_vcc 1
		.amdhsa_reserve_flat_scratch 0
		.amdhsa_float_round_mode_32 0
		.amdhsa_float_round_mode_16_64 0
		.amdhsa_float_denorm_mode_32 3
		.amdhsa_float_denorm_mode_16_64 3
		.amdhsa_dx10_clamp 1
		.amdhsa_ieee_mode 1
		.amdhsa_fp16_overflow 0
		.amdhsa_workgroup_processor_mode 1
		.amdhsa_memory_ordered 1
		.amdhsa_forward_progress 0
		.amdhsa_shared_vgpr_count 0
		.amdhsa_exception_fp_ieee_invalid_op 0
		.amdhsa_exception_fp_denorm_src 0
		.amdhsa_exception_fp_ieee_div_zero 0
		.amdhsa_exception_fp_ieee_overflow 0
		.amdhsa_exception_fp_ieee_underflow 0
		.amdhsa_exception_fp_ieee_inexact 0
		.amdhsa_exception_int_div_zero 0
	.end_amdhsa_kernel
	.text
.Lfunc_end0:
	.size	fft_rtc_fwd_len1600_factors_10_16_10_wgs_200_tpt_100_halfLds_dp_ip_CI_sbrr_dirReg, .Lfunc_end0-fft_rtc_fwd_len1600_factors_10_16_10_wgs_200_tpt_100_halfLds_dp_ip_CI_sbrr_dirReg
                                        ; -- End function
	.section	.AMDGPU.csdata,"",@progbits
; Kernel info:
; codeLenInByte = 12552
; NumSgprs: 25
; NumVgprs: 190
; ScratchSize: 0
; MemoryBound: 1
; FloatMode: 240
; IeeeMode: 1
; LDSByteSize: 0 bytes/workgroup (compile time only)
; SGPRBlocks: 3
; VGPRBlocks: 23
; NumSGPRsForWavesPerEU: 25
; NumVGPRsForWavesPerEU: 190
; Occupancy: 5
; WaveLimiterHint : 1
; COMPUTE_PGM_RSRC2:SCRATCH_EN: 0
; COMPUTE_PGM_RSRC2:USER_SGPR: 6
; COMPUTE_PGM_RSRC2:TRAP_HANDLER: 0
; COMPUTE_PGM_RSRC2:TGID_X_EN: 1
; COMPUTE_PGM_RSRC2:TGID_Y_EN: 0
; COMPUTE_PGM_RSRC2:TGID_Z_EN: 0
; COMPUTE_PGM_RSRC2:TIDIG_COMP_CNT: 0
	.text
	.p2alignl 6, 3214868480
	.fill 48, 4, 3214868480
	.type	__hip_cuid_671bf450e40d8d59,@object ; @__hip_cuid_671bf450e40d8d59
	.section	.bss,"aw",@nobits
	.globl	__hip_cuid_671bf450e40d8d59
__hip_cuid_671bf450e40d8d59:
	.byte	0                               ; 0x0
	.size	__hip_cuid_671bf450e40d8d59, 1

	.ident	"AMD clang version 19.0.0git (https://github.com/RadeonOpenCompute/llvm-project roc-6.4.0 25133 c7fe45cf4b819c5991fe208aaa96edf142730f1d)"
	.section	".note.GNU-stack","",@progbits
	.addrsig
	.addrsig_sym __hip_cuid_671bf450e40d8d59
	.amdgpu_metadata
---
amdhsa.kernels:
  - .args:
      - .actual_access:  read_only
        .address_space:  global
        .offset:         0
        .size:           8
        .value_kind:     global_buffer
      - .offset:         8
        .size:           8
        .value_kind:     by_value
      - .actual_access:  read_only
        .address_space:  global
        .offset:         16
        .size:           8
        .value_kind:     global_buffer
      - .actual_access:  read_only
        .address_space:  global
        .offset:         24
        .size:           8
        .value_kind:     global_buffer
      - .offset:         32
        .size:           8
        .value_kind:     by_value
      - .actual_access:  read_only
        .address_space:  global
        .offset:         40
        .size:           8
        .value_kind:     global_buffer
      - .actual_access:  read_only
        .address_space:  global
        .offset:         48
        .size:           8
        .value_kind:     global_buffer
      - .offset:         56
        .size:           4
        .value_kind:     by_value
      - .actual_access:  read_only
        .address_space:  global
        .offset:         64
        .size:           8
        .value_kind:     global_buffer
      - .actual_access:  read_only
        .address_space:  global
        .offset:         72
        .size:           8
        .value_kind:     global_buffer
      - .address_space:  global
        .offset:         80
        .size:           8
        .value_kind:     global_buffer
    .group_segment_fixed_size: 0
    .kernarg_segment_align: 8
    .kernarg_segment_size: 88
    .language:       OpenCL C
    .language_version:
      - 2
      - 0
    .max_flat_workgroup_size: 200
    .name:           fft_rtc_fwd_len1600_factors_10_16_10_wgs_200_tpt_100_halfLds_dp_ip_CI_sbrr_dirReg
    .private_segment_fixed_size: 0
    .sgpr_count:     25
    .sgpr_spill_count: 0
    .symbol:         fft_rtc_fwd_len1600_factors_10_16_10_wgs_200_tpt_100_halfLds_dp_ip_CI_sbrr_dirReg.kd
    .uniform_work_group_size: 1
    .uses_dynamic_stack: false
    .vgpr_count:     190
    .vgpr_spill_count: 0
    .wavefront_size: 32
    .workgroup_processor_mode: 1
amdhsa.target:   amdgcn-amd-amdhsa--gfx1030
amdhsa.version:
  - 1
  - 2
...

	.end_amdgpu_metadata
